;; amdgpu-corpus repo=ROCm/rocFFT kind=compiled arch=gfx1030 opt=O3
	.text
	.amdgcn_target "amdgcn-amd-amdhsa--gfx1030"
	.amdhsa_code_object_version 6
	.protected	fft_rtc_fwd_len169_factors_13_13_wgs_156_tpt_13_dp_op_CI_CI_sbrc_unaligned ; -- Begin function fft_rtc_fwd_len169_factors_13_13_wgs_156_tpt_13_dp_op_CI_CI_sbrc_unaligned
	.globl	fft_rtc_fwd_len169_factors_13_13_wgs_156_tpt_13_dp_op_CI_CI_sbrc_unaligned
	.p2align	8
	.type	fft_rtc_fwd_len169_factors_13_13_wgs_156_tpt_13_dp_op_CI_CI_sbrc_unaligned,@function
fft_rtc_fwd_len169_factors_13_13_wgs_156_tpt_13_dp_op_CI_CI_sbrc_unaligned: ; @fft_rtc_fwd_len169_factors_13_13_wgs_156_tpt_13_dp_op_CI_CI_sbrc_unaligned
; %bb.0:
	s_clause 0x1
	s_load_dwordx8 s[8:15], s[4:5], 0x0
	s_load_dwordx2 s[24:25], s[4:5], 0x20
	s_mov_b32 s28, 0
	s_mov_b32 s26, 3
	s_mov_b64 s[30:31], 2
	s_waitcnt lgkmcnt(0)
	s_load_dword s33, s[12:13], 0x8
	s_load_dwordx4 s[20:23], s[14:15], 0x0
	s_waitcnt lgkmcnt(0)
	s_add_i32 s0, s33, -1
	s_mul_hi_u32 s0, s0, 0xaaaaaaab
	s_lshr_b32 s0, s0, 3
	s_add_i32 s7, s0, 1
	v_cvt_f32_u32_e32 v1, s7
	s_sub_i32 s1, 0, s7
	v_rcp_iflag_f32_e32 v1, v1
	v_mul_f32_e32 v1, 0x4f7ffffe, v1
	v_cvt_u32_f32_e32 v1, v1
	v_readfirstlane_b32 s0, v1
	s_mul_i32 s1, s1, s0
	s_mul_hi_u32 s1, s0, s1
	s_add_i32 s16, s0, s1
	s_load_dwordx4 s[0:3], s[4:5], 0x58
	s_mul_hi_u32 s4, s6, s16
	s_load_dwordx4 s[16:19], s[24:25], 0x0
	s_mul_i32 s5, s4, s7
	s_waitcnt lgkmcnt(0)
	s_add_i32 s19, s4, 1
	s_sub_i32 s5, s6, s5
	s_sub_i32 s23, s5, s7
	s_cmp_ge_u32 s5, s7
	s_cselect_b32 s4, s19, s4
	s_cselect_b32 s5, s23, s5
	s_add_i32 s19, s4, 1
	s_cmp_ge_u32 s5, s7
	s_mov_b32 s23, s28
	s_cselect_b32 s50, s19, s4
	v_cmp_gt_u64_e64 s4, s[10:11], 2
	s_mul_i32 s5, s50, s7
	s_sub_i32 s19, s6, s5
	s_mul_i32 s19, s19, 12
	s_and_b32 vcc_lo, exec_lo, s4
	s_mul_i32 s5, s17, s19
	s_mul_hi_u32 s27, s16, s19
	s_mul_i32 s38, s19, s22
	s_mul_i32 s4, s16, s19
	s_add_i32 s5, s27, s5
	s_cbranch_vccz .LBB0_8
.LBB0_1:                                ; =>This Inner Loop Header: Depth=1
	s_lshl_b64 s[34:35], s[30:31], 3
	s_add_u32 s30, s12, s34
	s_addc_u32 s31, s13, s35
	s_load_dwordx2 s[30:31], s[30:31], 0x0
	s_waitcnt lgkmcnt(0)
	s_mov_b32 s29, s31
	s_cmp_lg_u64 s[28:29], 0
	s_cbranch_scc0 .LBB0_6
; %bb.2:                                ;   in Loop: Header=BB0_1 Depth=1
	v_cvt_f32_u32_e32 v1, s30
	v_cvt_f32_u32_e32 v2, s31
	s_sub_u32 s36, 0, s30
	s_subb_u32 s37, 0, s31
	v_fmac_f32_e32 v1, 0x4f800000, v2
	v_rcp_f32_e32 v1, v1
	v_mul_f32_e32 v1, 0x5f7ffffc, v1
	v_mul_f32_e32 v2, 0x2f800000, v1
	v_trunc_f32_e32 v2, v2
	v_fmac_f32_e32 v1, 0xcf800000, v2
	v_cvt_u32_f32_e32 v2, v2
	v_cvt_u32_f32_e32 v1, v1
	v_readfirstlane_b32 s27, v2
	v_readfirstlane_b32 s29, v1
	s_mul_i32 s39, s36, s27
	s_mul_hi_u32 s41, s36, s29
	s_mul_i32 s40, s37, s29
	s_add_i32 s39, s41, s39
	s_mul_i32 s42, s36, s29
	s_add_i32 s39, s39, s40
	s_mul_hi_u32 s41, s29, s42
	s_mul_hi_u32 s43, s27, s42
	s_mul_i32 s40, s27, s42
	s_mul_hi_u32 s42, s29, s39
	s_mul_i32 s29, s29, s39
	s_mul_hi_u32 s44, s27, s39
	s_add_u32 s29, s41, s29
	s_addc_u32 s41, 0, s42
	s_add_u32 s29, s29, s40
	s_mul_i32 s39, s27, s39
	s_addc_u32 s29, s41, s43
	s_addc_u32 s40, s44, 0
	s_add_u32 s29, s29, s39
	s_addc_u32 s39, 0, s40
	v_add_co_u32 v1, s29, v1, s29
	s_cmp_lg_u32 s29, 0
	s_addc_u32 s27, s27, s39
	v_readfirstlane_b32 s29, v1
	s_mul_i32 s39, s36, s27
	s_mul_hi_u32 s40, s36, s29
	s_mul_i32 s37, s37, s29
	s_add_i32 s39, s40, s39
	s_mul_i32 s36, s36, s29
	s_add_i32 s39, s39, s37
	s_mul_hi_u32 s40, s27, s36
	s_mul_i32 s41, s27, s36
	s_mul_hi_u32 s36, s29, s36
	s_mul_hi_u32 s42, s29, s39
	s_mul_i32 s29, s29, s39
	s_mul_hi_u32 s37, s27, s39
	s_add_u32 s29, s36, s29
	s_addc_u32 s36, 0, s42
	s_add_u32 s29, s29, s41
	s_mul_i32 s39, s27, s39
	s_addc_u32 s29, s36, s40
	s_addc_u32 s36, s37, 0
	s_add_u32 s29, s29, s39
	s_addc_u32 s36, 0, s36
	v_add_co_u32 v1, s29, v1, s29
	s_cmp_lg_u32 s29, 0
	s_addc_u32 s27, s27, s36
	v_readfirstlane_b32 s29, v1
	s_mul_i32 s36, s50, s27
	s_mul_hi_u32 s27, s50, s27
	s_mul_hi_u32 s29, s50, s29
	s_add_u32 s29, s29, s36
	s_addc_u32 s29, 0, s27
	s_mul_i32 s27, s31, s29
	s_mul_hi_u32 s36, s30, s29
	s_mul_i32 s37, s30, s29
	s_add_i32 s36, s36, s27
	v_sub_co_u32 v1, s27, s50, s37
	s_sub_i32 s37, 0, s36
	s_cmp_lg_u32 s27, 0
	v_sub_co_u32 v2, s39, v1, s30
	s_subb_u32 s37, s37, s31
	s_cmp_lg_u32 s39, 0
	v_readfirstlane_b32 s39, v2
	s_subb_u32 s37, s37, 0
	s_cmp_ge_u32 s37, s31
	s_cselect_b32 s40, -1, 0
	s_cmp_ge_u32 s39, s30
	s_cselect_b32 s39, -1, 0
	s_cmp_eq_u32 s37, s31
	s_cselect_b32 s37, s39, s40
	s_add_u32 s39, s29, 1
	s_addc_u32 s40, 0, 0
	s_add_u32 s41, s29, 2
	s_addc_u32 s42, 0, 0
	s_cmp_lg_u32 s37, 0
	s_cselect_b32 s39, s41, s39
	s_cselect_b32 s37, s42, s40
	s_cmp_lg_u32 s27, 0
	v_readfirstlane_b32 s27, v1
	s_subb_u32 s36, 0, s36
	s_cmp_ge_u32 s36, s31
	s_cselect_b32 s40, -1, 0
	s_cmp_ge_u32 s27, s30
	s_cselect_b32 s27, -1, 0
	s_cmp_eq_u32 s36, s31
	s_cselect_b32 s27, s27, s40
	s_cmp_lg_u32 s27, 0
	s_cselect_b32 s37, s37, 0
	s_cselect_b32 s36, s39, s29
	s_cbranch_execnz .LBB0_4
.LBB0_3:                                ;   in Loop: Header=BB0_1 Depth=1
	v_cvt_f32_u32_e32 v1, s30
	s_sub_i32 s29, 0, s30
	v_rcp_iflag_f32_e32 v1, v1
	v_mul_f32_e32 v1, 0x4f7ffffe, v1
	v_cvt_u32_f32_e32 v1, v1
	v_readfirstlane_b32 s27, v1
	s_mul_i32 s29, s29, s27
	s_mul_hi_u32 s29, s27, s29
	s_add_i32 s27, s27, s29
	s_mul_hi_u32 s27, s50, s27
	s_mul_i32 s29, s27, s30
	s_add_i32 s36, s27, 1
	s_sub_i32 s29, s50, s29
	s_sub_i32 s37, s29, s30
	s_cmp_ge_u32 s29, s30
	s_cselect_b32 s27, s36, s27
	s_cselect_b32 s29, s37, s29
	s_add_i32 s36, s27, 1
	s_cmp_ge_u32 s29, s30
	s_mov_b32 s37, s28
	s_cselect_b32 s36, s36, s27
.LBB0_4:                                ;   in Loop: Header=BB0_1 Depth=1
	s_mul_i32 s27, s36, s31
	s_mul_hi_u32 s29, s36, s30
	s_mul_i32 s31, s36, s30
	s_add_i32 s27, s29, s27
	s_mul_i32 s29, s37, s30
	s_mul_i32 s7, s7, s30
	s_add_i32 s27, s27, s29
	s_sub_u32 s29, s50, s31
	s_subb_u32 s37, 0, s27
	s_add_u32 s40, s14, s34
	s_addc_u32 s41, s15, s35
	s_load_dwordx2 s[40:41], s[40:41], 0x0
	s_waitcnt lgkmcnt(0)
	s_mul_i32 s27, s40, s37
	s_mul_hi_u32 s31, s40, s29
	s_mul_i32 s39, s41, s29
	s_add_i32 s27, s31, s27
	s_mul_i32 s31, s40, s29
	s_add_i32 s27, s27, s39
	s_add_u32 s38, s31, s38
	s_addc_u32 s23, s27, s23
	s_add_u32 s34, s24, s34
	s_addc_u32 s35, s25, s35
	s_mov_b32 s27, s28
	s_load_dwordx2 s[34:35], s[34:35], 0x0
	s_mov_b64 s[30:31], s[26:27]
	v_cmp_ge_u64_e64 s27, s[26:27], s[10:11]
	s_waitcnt lgkmcnt(0)
	s_mul_i32 s37, s34, s37
	s_mul_hi_u32 s39, s34, s29
	s_mul_i32 s35, s35, s29
	s_add_i32 s37, s39, s37
	s_mul_i32 s29, s34, s29
	s_add_i32 s37, s37, s35
	s_add_u32 s4, s29, s4
	s_addc_u32 s5, s37, s5
	s_and_b32 vcc_lo, exec_lo, s27
	s_add_i32 s26, s26, 1
	s_cbranch_vccnz .LBB0_7
; %bb.5:                                ;   in Loop: Header=BB0_1 Depth=1
	s_mov_b32 s50, s36
	s_branch .LBB0_1
.LBB0_6:                                ;   in Loop: Header=BB0_1 Depth=1
                                        ; implicit-def: $sgpr36_sgpr37
	s_branch .LBB0_3
.LBB0_7:
	v_cvt_f32_u32_e32 v1, s7
	s_sub_i32 s13, 0, s7
	v_rcp_iflag_f32_e32 v1, v1
	v_mul_f32_e32 v1, 0x4f7ffffe, v1
	v_cvt_u32_f32_e32 v1, v1
	v_readfirstlane_b32 s12, v1
	s_mul_i32 s13, s13, s12
	s_mul_hi_u32 s13, s12, s13
	s_add_i32 s12, s12, s13
	s_mul_hi_u32 s12, s6, s12
	s_mul_i32 s13, s12, s7
	s_sub_i32 s6, s6, s13
	s_add_i32 s13, s12, 1
	s_sub_i32 s26, s6, s7
	s_cmp_ge_u32 s6, s7
	s_cselect_b32 s12, s13, s12
	s_cselect_b32 s6, s26, s6
	s_add_i32 s13, s12, 1
	s_cmp_ge_u32 s6, s7
	s_cselect_b32 s50, s13, s12
.LBB0_8:
	s_lshl_b64 s[6:7], s[10:11], 3
	v_lshl_add_u32 v3, v0, 4, 0
	s_add_u32 s10, s14, s6
	s_addc_u32 s11, s15, s7
	s_mov_b32 s13, -1
	s_load_dwordx2 s[10:11], s[10:11], 0x0
	s_waitcnt lgkmcnt(0)
	s_mul_i32 s11, s11, s50
	s_mul_hi_u32 s12, s10, s50
	s_mul_i32 s10, s10, s50
	s_add_i32 s12, s12, s11
	s_add_u32 s10, s10, s38
	s_addc_u32 s11, s12, s23
	s_add_u32 s6, s24, s6
	s_addc_u32 s7, s25, s7
	s_add_i32 s12, s19, 12
	s_load_dwordx2 s[6:7], s[6:7], 0x0
	s_cmp_le_u32 s12, s33
	s_mov_b32 s12, 0
	s_cselect_b32 s51, -1, 0
	s_and_b32 vcc_lo, exec_lo, s51
	s_cbranch_vccnz .LBB0_12
; %bb.9:
	s_lshl_b64 s[14:15], s[10:11], 4
	v_mov_b32_e32 v2, 0
	v_mov_b32_e32 v4, 0xc1e5
	;; [unrolled: 1-line block ×4, first 2 shown]
	s_add_u32 s13, s0, s14
	s_addc_u32 s14, s1, s15
	s_inst_prefetch 0x1
	.p2align	6
.LBB0_10:                               ; =>This Inner Loop Header: Depth=1
	v_mul_u32_u24_sdwa v1, v5, v4 dst_sel:DWORD dst_unused:UNUSED_PAD src0_sel:WORD_0 src1_sel:DWORD
	v_lshrrev_b32_e32 v10, 23, v1
	v_mul_lo_u16 v1, 0xa9, v10
	v_sub_nc_u16 v1, v5, v1
	v_add_nc_u32_e32 v5, 0x9c, v5
	v_and_b32_e32 v9, 0xffff, v1
	v_mad_u64_u32 v[7:8], null, s20, v9, 0
	v_mov_b32_e32 v1, v8
	v_mad_u64_u32 v[8:9], null, s21, v9, v[1:2]
	v_mul_lo_u32 v1, s22, v10
	v_lshlrev_b64 v[7:8], 4, v[7:8]
	v_lshlrev_b64 v[9:10], 4, v[1:2]
	v_add_co_u32 v1, vcc_lo, s13, v7
	v_add_co_ci_u32_e32 v8, vcc_lo, s14, v8, vcc_lo
	v_add_co_u32 v7, vcc_lo, v1, v9
	v_add_co_ci_u32_e32 v8, vcc_lo, v8, v10, vcc_lo
	v_cmp_lt_u32_e32 vcc_lo, 0x7eb, v5
	global_load_dwordx4 v[7:10], v[7:8], off
	s_or_b32 s12, vcc_lo, s12
	s_waitcnt vmcnt(0)
	ds_write_b128 v6, v[7:10]
	v_add_nc_u32_e32 v6, 0x9c0, v6
	s_andn2_b32 exec_lo, exec_lo, s12
	s_cbranch_execnz .LBB0_10
; %bb.11:
	s_inst_prefetch 0x2
	s_or_b32 exec_lo, exec_lo, s12
	s_mov_b32 s13, 0
.LBB0_12:
	s_and_b32 vcc_lo, exec_lo, s13
	s_cbranch_vccz .LBB0_14
; %bb.13:
	v_mov_b32_e32 v1, 0x184
	v_add_nc_u32_e32 v4, 0x9c, v0
	v_add_nc_u32_e32 v8, 0x138, v0
	;; [unrolled: 1-line block ×4, first 2 shown]
	v_mul_u32_u24_sdwa v1, v0, v1 dst_sel:DWORD dst_unused:UNUSED_PAD src0_sel:WORD_0 src1_sel:DWORD
	v_mul_u32_u24_e32 v2, 0x184, v4
	v_mul_u32_u24_e32 v7, 0x184, v8
	;; [unrolled: 1-line block ×3, first 2 shown]
	s_lshl_b64 s[10:11], s[10:11], 4
	v_lshrrev_b32_e32 v1, 16, v1
	v_lshrrev_b32_e32 v13, 16, v2
	;; [unrolled: 1-line block ×4, first 2 shown]
	v_mov_b32_e32 v2, 0
	v_mul_lo_u16 v5, 0xa9, v1
	v_mul_lo_u16 v6, 0xa9, v13
	;; [unrolled: 1-line block ×3, first 2 shown]
	v_mul_lo_u32 v1, s22, v1
	s_add_u32 s0, s0, s10
	v_sub_nc_u16 v5, v0, v5
	v_sub_nc_u16 v4, v4, v6
	;; [unrolled: 1-line block ×3, first 2 shown]
	v_mul_lo_u16 v15, 0xa9, v18
	v_mul_u32_u24_e32 v20, 0x184, v17
	v_and_b32_e32 v9, 0xffff, v5
	v_and_b32_e32 v11, 0xffff, v4
	;; [unrolled: 1-line block ×3, first 2 shown]
	s_addc_u32 s1, s1, s11
	v_lshrrev_b32_e32 v22, 16, v20
	v_mad_u64_u32 v[4:5], null, s20, v9, 0
	v_mad_u64_u32 v[6:7], null, s20, v11, 0
	v_add_nc_u32_e32 v20, 0x30c, v0
	v_add_nc_u32_e32 v34, 0x4e0, v0
	;; [unrolled: 1-line block ×6, first 2 shown]
	v_mad_u64_u32 v[8:9], null, s21, v9, v[5:6]
	v_lshlrev_b64 v[9:10], 4, v[1:2]
	v_mul_lo_u32 v1, s22, v13
	v_mul_u32_u24_e32 v46, 0xc1f, v44
	v_mad_u64_u32 v[11:12], null, s21, v11, v[7:8]
	v_mov_b32_e32 v5, v8
	v_mad_u64_u32 v[12:13], null, s20, v19, 0
	v_sub_nc_u16 v8, v14, v15
	v_lshlrev_b64 v[14:15], 4, v[1:2]
	v_lshlrev_b64 v[4:5], 4, v[4:5]
	v_mov_b32_e32 v7, v11
	v_lshrrev_b32_e32 v53, 19, v46
	v_and_b32_e32 v21, 0xffff, v8
	v_mov_b32_e32 v1, v13
	v_lshlrev_b64 v[6:7], 4, v[6:7]
	v_add_co_u32 v4, vcc_lo, s0, v4
	v_add_co_ci_u32_e32 v5, vcc_lo, s1, v5, vcc_lo
	v_add_co_u32 v6, vcc_lo, s0, v6
	v_add_co_ci_u32_e32 v7, vcc_lo, s1, v7, vcc_lo
	v_add_co_u32 v4, vcc_lo, v4, v9
	v_add_co_ci_u32_e32 v5, vcc_lo, v5, v10, vcc_lo
	v_add_co_u32 v8, vcc_lo, v6, v14
	v_mad_u64_u32 v[13:14], null, s21, v19, v[1:2]
	v_mul_lo_u16 v19, 0xa9, v22
	v_add_co_ci_u32_e32 v9, vcc_lo, v7, v15, vcc_lo
	v_mad_u64_u32 v[14:15], null, s20, v21, 0
	v_sub_nc_u16 v17, v17, v19
	v_mul_u32_u24_e32 v19, 0xc1f, v20
	v_mul_lo_u32 v1, s22, v16
	v_lshlrev_b64 v[12:13], 4, v[12:13]
	s_clause 0x1
	global_load_dwordx4 v[4:7], v[4:5], off
	global_load_dwordx4 v[8:11], v[8:9], off
	v_lshrrev_b32_e32 v23, 19, v19
	v_mad_u64_u32 v[15:16], null, s21, v21, v[15:16]
	v_add_co_u32 v19, vcc_lo, s0, v12
	v_mul_lo_u16 v25, 0xa9, v23
	v_and_b32_e32 v21, 0xffff, v17
	v_add_co_ci_u32_e32 v24, vcc_lo, s1, v13, vcc_lo
	v_lshlrev_b64 v[12:13], 4, v[1:2]
	v_sub_nc_u16 v20, v20, v25
	v_mad_u64_u32 v[16:17], null, s20, v21, 0
	v_add_nc_u32_e32 v25, 0x3a8, v0
	v_mul_lo_u32 v1, s22, v18
	v_add_co_u32 v12, vcc_lo, v19, v12
	v_add_co_ci_u32_e32 v13, vcc_lo, v24, v13, vcc_lo
	v_and_b32_e32 v24, 0xffff, v20
	v_mad_u64_u32 v[17:18], null, s21, v21, v[17:18]
	v_mul_u32_u24_e32 v26, 0xc1f, v25
	v_lshlrev_b64 v[14:15], 4, v[14:15]
	v_mad_u64_u32 v[18:19], null, s20, v24, 0
	v_lshlrev_b64 v[20:21], 4, v[1:2]
	v_lshrrev_b32_e32 v32, 19, v26
	v_add_co_u32 v14, vcc_lo, s0, v14
	v_add_co_ci_u32_e32 v15, vcc_lo, s1, v15, vcc_lo
	v_mov_b32_e32 v1, v19
	v_mul_lo_u16 v19, 0xa9, v32
	v_add_co_u32 v20, vcc_lo, v14, v20
	v_add_co_ci_u32_e32 v21, vcc_lo, v15, v21, vcc_lo
	v_lshlrev_b64 v[14:15], 4, v[16:17]
	v_mad_u64_u32 v[16:17], null, s21, v24, v[1:2]
	v_add_nc_u32_e32 v24, 0x444, v0
	v_sub_nc_u16 v17, v25, v19
	v_mul_lo_u32 v1, s22, v22
	v_add_co_u32 v22, vcc_lo, s0, v14
	v_mul_u32_u24_e32 v27, 0xc1f, v24
	v_and_b32_e32 v26, 0xffff, v17
	v_mov_b32_e32 v19, v16
	v_add_co_ci_u32_e32 v25, vcc_lo, s1, v15, vcc_lo
	v_lshrrev_b32_e32 v33, 19, v27
	v_lshlrev_b64 v[14:15], 4, v[1:2]
	v_mul_lo_u32 v1, s22, v23
	v_mad_u64_u32 v[28:29], null, s20, v26, 0
	v_lshlrev_b64 v[16:17], 4, v[18:19]
	v_mul_lo_u16 v18, 0xa9, v33
	v_add_co_u32 v22, vcc_lo, v22, v14
	v_add_co_ci_u32_e32 v23, vcc_lo, v25, v15, vcc_lo
	v_lshlrev_b64 v[14:15], 4, v[1:2]
	v_mov_b32_e32 v1, v29
	v_sub_nc_u16 v18, v24, v18
	v_add_co_u32 v16, vcc_lo, s0, v16
	v_add_co_ci_u32_e32 v17, vcc_lo, s1, v17, vcc_lo
	v_mad_u64_u32 v[29:30], null, s21, v26, v[1:2]
	v_mul_u32_u24_e32 v1, 0xc1f, v34
	v_and_b32_e32 v35, 0xffff, v18
	v_add_co_u32 v24, vcc_lo, v16, v14
	v_add_co_ci_u32_e32 v25, vcc_lo, v17, v15, vcc_lo
	v_lshrrev_b32_e32 v40, 19, v1
	v_mad_u64_u32 v[30:31], null, s20, v35, 0
	v_mul_lo_u32 v1, s22, v32
	v_lshlrev_b64 v[28:29], 4, v[28:29]
	v_mul_lo_u16 v36, 0xa9, v40
	s_clause 0x3
	global_load_dwordx4 v[12:15], v[12:13], off
	global_load_dwordx4 v[16:19], v[20:21], off
	;; [unrolled: 1-line block ×4, first 2 shown]
	v_mad_u64_u32 v[31:32], null, s21, v35, v[31:32]
	v_sub_nc_u16 v32, v34, v36
	v_mul_u32_u24_e32 v34, 0xc1f, v38
	v_add_co_u32 v35, vcc_lo, s0, v28
	v_add_co_ci_u32_e32 v39, vcc_lo, s1, v29, vcc_lo
	v_and_b32_e32 v41, 0xffff, v32
	v_lshrrev_b32_e32 v42, 19, v34
	v_lshlrev_b64 v[28:29], 4, v[1:2]
	v_mul_lo_u32 v1, s22, v33
	v_lshlrev_b64 v[30:31], 4, v[30:31]
	v_mad_u64_u32 v[36:37], null, s20, v41, 0
	v_mul_lo_u16 v33, 0xa9, v42
	v_add_co_u32 v28, vcc_lo, v35, v28
	v_add_co_ci_u32_e32 v29, vcc_lo, v39, v29, vcc_lo
	v_sub_nc_u16 v34, v38, v33
	v_mov_b32_e32 v32, v37
	v_add_co_u32 v35, vcc_lo, s0, v30
	v_add_co_ci_u32_e32 v37, vcc_lo, s1, v31, vcc_lo
	v_lshlrev_b64 v[30:31], 4, v[1:2]
	v_mad_u64_u32 v[32:33], null, s21, v41, v[32:33]
	v_and_b32_e32 v41, 0xffff, v34
	v_mul_u32_u24_e32 v1, 0xc1f, v43
	v_add_co_u32 v33, vcc_lo, v35, v30
	v_add_co_ci_u32_e32 v34, vcc_lo, v37, v31, vcc_lo
	v_mad_u64_u32 v[38:39], null, s20, v41, 0
	v_mov_b32_e32 v37, v32
	v_lshrrev_b32_e32 v49, 19, v1
	v_mul_lo_u32 v1, s22, v40
	s_clause 0x1
	global_load_dwordx4 v[28:31], v[28:29], off
	global_load_dwordx4 v[32:35], v[33:34], off
	v_lshlrev_b64 v[36:37], 4, v[36:37]
	v_mul_lo_u16 v45, 0xa9, v49
	v_mad_u64_u32 v[39:40], null, s21, v41, v[39:40]
	v_mul_u32_u24_e32 v41, 0xc1f, v47
	v_sub_nc_u16 v40, v43, v45
	v_add_co_u32 v43, vcc_lo, s0, v36
	v_add_co_ci_u32_e32 v45, vcc_lo, s1, v37, vcc_lo
	v_lshlrev_b64 v[36:37], 4, v[1:2]
	v_mul_lo_u16 v1, 0xa9, v53
	v_lshrrev_b32_e32 v54, 19, v41
	v_and_b32_e32 v46, 0xffff, v40
	v_lshlrev_b64 v[38:39], 4, v[38:39]
	v_sub_nc_u16 v44, v44, v1
	v_mul_lo_u16 v1, 0xa9, v54
	v_add_co_u32 v36, vcc_lo, v43, v36
	v_mad_u64_u32 v[40:41], null, s20, v46, 0
	v_sub_nc_u16 v43, v47, v1
	v_and_b32_e32 v50, 0xffff, v44
	v_mul_lo_u32 v1, s22, v42
	v_add_co_ci_u32_e32 v37, vcc_lo, v45, v37, vcc_lo
	v_and_b32_e32 v51, 0xffff, v43
	v_mad_u64_u32 v[42:43], null, s20, v50, 0
	v_add_co_u32 v52, vcc_lo, s0, v38
	v_add_co_ci_u32_e32 v55, vcc_lo, s1, v39, vcc_lo
	v_lshlrev_b64 v[47:48], 4, v[1:2]
	v_mul_lo_u32 v1, s22, v49
	v_mad_u64_u32 v[44:45], null, s21, v46, v[41:42]
	v_mad_u64_u32 v[45:46], null, s20, v51, 0
	v_mov_b32_e32 v38, v43
	v_add_co_u32 v47, vcc_lo, v52, v47
	v_add_co_ci_u32_e32 v48, vcc_lo, v55, v48, vcc_lo
	v_mov_b32_e32 v41, v44
	v_mad_u64_u32 v[38:39], null, s21, v50, v[38:39]
	v_mov_b32_e32 v39, v46
	v_lshlrev_b64 v[49:50], 4, v[1:2]
	v_lshlrev_b64 v[40:41], 4, v[40:41]
	v_mul_lo_u32 v1, s22, v53
	v_mov_b32_e32 v43, v38
	v_mad_u64_u32 v[51:52], null, s21, v51, v[39:40]
	v_add_co_u32 v40, vcc_lo, s0, v40
	v_add_co_ci_u32_e32 v41, vcc_lo, s1, v41, vcc_lo
	v_lshlrev_b64 v[38:39], 4, v[42:43]
	v_add_co_u32 v49, vcc_lo, v40, v49
	v_mov_b32_e32 v46, v51
	v_add_co_ci_u32_e32 v50, vcc_lo, v41, v50, vcc_lo
	v_lshlrev_b64 v[40:41], 4, v[1:2]
	v_mul_lo_u32 v1, s22, v54
	v_lshlrev_b64 v[42:43], 4, v[45:46]
	v_add_co_u32 v38, vcc_lo, s0, v38
	v_add_co_ci_u32_e32 v39, vcc_lo, s1, v39, vcc_lo
	v_add_co_u32 v42, vcc_lo, s0, v42
	v_lshlrev_b64 v[1:2], 4, v[1:2]
	v_add_co_ci_u32_e32 v43, vcc_lo, s1, v43, vcc_lo
	v_add_co_u32 v51, vcc_lo, v38, v40
	v_add_co_ci_u32_e32 v52, vcc_lo, v39, v41, vcc_lo
	v_add_co_u32 v1, vcc_lo, v42, v1
	v_add_co_ci_u32_e32 v2, vcc_lo, v43, v2, vcc_lo
	s_clause 0x4
	global_load_dwordx4 v[36:39], v[36:37], off
	global_load_dwordx4 v[40:43], v[47:48], off
	;; [unrolled: 1-line block ×5, first 2 shown]
	s_waitcnt vmcnt(12)
	ds_write_b128 v3, v[4:7]
	s_waitcnt vmcnt(11)
	ds_write_b128 v3, v[8:11] offset:2496
	s_waitcnt vmcnt(10)
	ds_write_b128 v3, v[12:15] offset:4992
	;; [unrolled: 2-line block ×12, first 2 shown]
.LBB0_14:
	v_mov_b32_e32 v1, 0x13b2
	v_mul_hi_u32 v2, 0x13b13b14, v0
	s_waitcnt lgkmcnt(0)
	s_barrier
	buffer_gl0_inv
	v_mul_u32_u24_sdwa v1, v0, v1 dst_sel:DWORD dst_unused:UNUSED_PAD src0_sel:WORD_0 src1_sel:DWORD
	s_mov_b32 s46, 0x4267c47c
	s_mov_b32 s34, 0x66966769
	;; [unrolled: 1-line block ×3, first 2 shown]
	v_mul_u32_u24_e32 v2, 13, v2
	v_add_nc_u32_sdwa v1, s19, v1 dst_sel:DWORD dst_unused:UNUSED_PAD src0_sel:DWORD src1_sel:WORD_1
	s_mov_b32 s35, 0xbfefc445
	s_mov_b32 s30, 0x42a4c3d2
	;; [unrolled: 1-line block ×3, first 2 shown]
	v_sub_nc_u32_e32 v9, v0, v2
	v_mul_hi_u32 v3, 0xaaaaaaab, v1
	s_mov_b32 s10, 0x2ef20147
	s_mov_b32 s38, 0x4bc48dbf
	;; [unrolled: 1-line block ×3, first 2 shown]
	v_lshlrev_b32_e32 v10, 4, v9
	s_mov_b32 s12, 0xebaa3ed8
	s_mov_b32 s11, 0xbfedeba7
	s_mov_b32 s39, 0xbfcea1e5
	v_lshrrev_b32_e32 v3, 3, v3
	s_mov_b32 s15, 0x3fec55a7
	s_mov_b32 s13, 0x3fbedb7d
	;; [unrolled: 1-line block ×4, first 2 shown]
	v_mul_lo_u32 v3, v3, 12
	s_mov_b32 s22, 0xb2365da1
	s_mov_b32 s20, 0x93053d00
	;; [unrolled: 1-line block ×7, first 2 shown]
	v_sub_nc_u32_e32 v1, v1, v3
	s_mov_b32 s29, 0xbfe5384d
	s_mov_b32 s41, 0x3fe5384d
	;; [unrolled: 1-line block ×4, first 2 shown]
	v_mul_u32_u24_e32 v1, 0xa9, v1
	s_mov_b32 s36, s46
	s_mov_b32 s24, 0xd0032e0c
	;; [unrolled: 1-line block ×4, first 2 shown]
	v_lshlrev_b32_e32 v1, 4, v1
	s_mov_b32 s26, s34
	s_mov_b32 s45, 0x3fcea1e5
	;; [unrolled: 1-line block ×4, first 2 shown]
	v_add_nc_u32_e32 v11, 0, v1
	v_add3_u32 v129, 0, v10, v1
	s_mov_b32 s48, s30
	ds_read_b128 v[12:15], v129 offset:208
	ds_read_b128 v[1:4], v129 offset:2496
	;; [unrolled: 1-line block ×4, first 2 shown]
	v_add_nc_u32_e32 v10, v11, v10
	ds_read_b128 v[20:23], v129 offset:624
	ds_read_b128 v[24:27], v129 offset:2080
	;; [unrolled: 1-line block ×5, first 2 shown]
	v_mad_u32_u24 v11, 0xd0, v9, v11
	ds_read_b128 v[40:43], v10
	ds_read_b128 v[44:47], v129 offset:1040
	ds_read_b128 v[48:51], v129 offset:1248
	;; [unrolled: 1-line block ×3, first 2 shown]
	s_waitcnt lgkmcnt(0)
	s_barrier
	buffer_gl0_inv
	v_add_f64 v[56:57], v[14:15], -v[3:4]
	v_add_f64 v[58:59], v[12:13], -v[1:2]
	v_add_f64 v[64:65], v[12:13], v[1:2]
	v_add_f64 v[66:67], v[14:15], v[3:4]
	v_add_f64 v[60:61], v[16:17], -v[5:6]
	v_add_f64 v[62:63], v[18:19], -v[7:8]
	;; [unrolled: 1-line block ×4, first 2 shown]
	v_add_f64 v[12:13], v[40:41], v[12:13]
	v_add_f64 v[14:15], v[42:43], v[14:15]
	v_add_f64 v[72:73], v[16:17], v[5:6]
	v_add_f64 v[74:75], v[18:19], v[7:8]
	v_add_f64 v[78:79], v[30:31], -v[38:39]
	v_add_f64 v[76:77], v[28:29], -v[36:37]
	v_add_f64 v[80:81], v[20:21], v[24:25]
	v_add_f64 v[82:83], v[22:23], v[26:27]
	;; [unrolled: 1-line block ×3, first 2 shown]
	v_add_f64 v[100:101], v[50:51], -v[54:55]
	v_add_f64 v[84:85], v[28:29], v[36:37]
	v_add_f64 v[96:97], v[48:49], v[52:53]
	v_add_f64 v[102:103], v[48:49], -v[52:53]
	v_add_f64 v[86:87], v[30:31], v[38:39]
	v_mul_f64 v[104:105], v[56:57], s[46:47]
	v_mul_f64 v[126:127], v[58:59], s[34:35]
	;; [unrolled: 1-line block ×8, first 2 shown]
	v_add_f64 v[12:13], v[12:13], v[16:17]
	v_add_f64 v[14:15], v[14:15], v[18:19]
	v_mul_f64 v[150:151], v[60:61], s[38:39]
	v_mul_f64 v[16:17], v[56:57], s[10:11]
	;; [unrolled: 1-line block ×11, first 2 shown]
	v_add_f64 v[92:93], v[44:45], -v[32:33]
	v_fma_f64 v[194:195], v[64:65], s[14:15], -v[104:105]
	v_fma_f64 v[220:221], v[66:67], s[12:13], v[126:127]
	v_fma_f64 v[126:127], v[66:67], s[12:13], -v[126:127]
	v_fma_f64 v[212:213], v[64:65], s[12:13], -v[122:123]
	v_fma_f64 v[218:219], v[66:67], s[0:1], v[124:125]
	v_fma_f64 v[124:125], v[66:67], s[0:1], -v[124:125]
	v_fma_f64 v[196:197], v[66:67], s[14:15], v[106:107]
	v_fma_f64 v[198:199], v[72:73], s[0:1], -v[108:109]
	v_add_f64 v[12:13], v[12:13], v[20:21]
	v_add_f64 v[14:15], v[14:15], v[22:23]
	v_fma_f64 v[210:211], v[64:65], s[0:1], -v[116:117]
	v_fma_f64 v[122:123], v[64:65], s[12:13], v[122:123]
	v_fma_f64 v[232:233], v[74:75], s[22:23], v[144:145]
	v_mul_f64 v[20:21], v[68:69], s[38:39]
	v_mul_f64 v[22:23], v[70:71], s[42:43]
	v_fma_f64 v[214:215], v[64:65], s[22:23], -v[16:17]
	v_fma_f64 v[222:223], v[66:67], s[22:23], v[130:131]
	v_fma_f64 v[230:231], v[72:73], s[22:23], -v[142:143]
	v_add_f64 v[94:95], v[46:47], -v[34:35]
	v_mul_f64 v[114:115], v[68:69], s[34:35]
	v_mul_f64 v[118:119], v[78:79], s[10:11]
	;; [unrolled: 1-line block ×3, first 2 shown]
	v_add_f64 v[194:195], v[40:41], v[194:195]
	v_add_f64 v[220:221], v[42:43], v[220:221]
	;; [unrolled: 1-line block ×4, first 2 shown]
	v_mul_f64 v[132:133], v[58:59], s[28:29]
	v_add_f64 v[124:125], v[42:43], v[124:125]
	v_mul_f64 v[146:147], v[70:71], s[38:39]
	v_mul_f64 v[170:171], v[76:77], s[36:37]
	v_add_f64 v[12:13], v[12:13], v[28:29]
	v_add_f64 v[14:15], v[14:15], v[30:31]
	v_fma_f64 v[200:201], v[74:75], s[0:1], v[110:111]
	v_fma_f64 v[202:203], v[80:81], s[12:13], -v[112:113]
	v_add_f64 v[196:197], v[42:43], v[196:197]
	v_add_f64 v[210:211], v[40:41], v[210:211]
	v_add_f64 v[122:123], v[40:41], v[122:123]
	v_add_f64 v[88:89], v[44:45], v[32:33]
	v_mul_f64 v[56:57], v[56:57], s[38:39]
	v_mul_f64 v[160:161], v[70:71], s[36:37]
	;; [unrolled: 1-line block ×5, first 2 shown]
	v_fma_f64 v[104:105], v[64:65], s[14:15], v[104:105]
	v_add_f64 v[194:195], v[198:199], v[194:195]
	v_fma_f64 v[116:117], v[64:65], s[0:1], v[116:117]
	v_fma_f64 v[130:131], v[66:67], s[22:23], -v[130:131]
	v_fma_f64 v[234:235], v[72:73], s[24:25], -v[152:153]
	v_fma_f64 v[236:237], v[74:75], s[24:25], v[154:155]
	v_fma_f64 v[242:243], v[82:83], s[20:21], v[20:21]
	v_fma_f64 v[20:21], v[82:83], s[20:21], -v[20:21]
	v_fma_f64 v[244:245], v[80:81], s[22:23], -v[22:23]
	v_add_f64 v[12:13], v[12:13], v[44:45]
	v_add_f64 v[14:15], v[14:15], v[46:47]
	v_fma_f64 v[246:247], v[82:83], s[22:23], v[158:159]
	v_add_f64 v[214:215], v[40:41], v[214:215]
	v_add_f64 v[90:91], v[46:47], v[34:35]
	v_mul_f64 v[58:59], v[58:59], s[38:39]
	v_mul_f64 v[134:135], v[94:95], s[28:29]
	;; [unrolled: 1-line block ×6, first 2 shown]
	v_fma_f64 v[204:205], v[82:83], s[12:13], v[114:115]
	v_fma_f64 v[206:207], v[84:85], s[22:23], -v[118:119]
	v_fma_f64 v[216:217], v[64:65], s[24:25], -v[18:19]
	;; [unrolled: 1-line block ×3, first 2 shown]
	v_fma_f64 v[224:225], v[66:67], s[24:25], v[132:133]
	v_fma_f64 v[240:241], v[80:81], s[20:21], -v[146:147]
	v_fma_f64 v[22:23], v[80:81], s[22:23], v[22:23]
	v_add_f64 v[196:197], v[200:201], v[196:197]
	v_fma_f64 v[200:201], v[86:87], s[14:15], v[170:171]
	v_fma_f64 v[170:171], v[86:87], s[14:15], -v[170:171]
	v_add_f64 v[210:211], v[230:231], v[210:211]
	v_add_f64 v[12:13], v[12:13], v[48:49]
	;; [unrolled: 1-line block ×3, first 2 shown]
	v_fma_f64 v[50:51], v[74:75], s[22:23], -v[144:145]
	v_fma_f64 v[144:145], v[74:75], s[20:21], v[150:151]
	v_fma_f64 v[150:151], v[74:75], s[20:21], -v[150:151]
	v_fma_f64 v[48:49], v[72:73], s[22:23], v[142:143]
	;; [unrolled: 2-line block ×3, first 2 shown]
	v_add_f64 v[194:195], v[202:203], v[194:195]
	v_mul_f64 v[120:121], v[76:77], s[10:11]
	v_mul_f64 v[176:177], v[92:93], s[26:27]
	;; [unrolled: 1-line block ×4, first 2 shown]
	v_fma_f64 v[16:17], v[64:65], s[22:23], v[16:17]
	v_fma_f64 v[18:19], v[64:65], s[24:25], v[18:19]
	v_fma_f64 v[44:45], v[64:65], s[20:21], -v[56:57]
	v_fma_f64 v[46:47], v[64:65], s[20:21], v[56:57]
	v_fma_f64 v[154:155], v[74:75], s[24:25], -v[154:155]
	;; [unrolled: 2-line block ×3, first 2 shown]
	v_add_f64 v[218:219], v[42:43], v[218:219]
	v_add_f64 v[116:117], v[40:41], v[116:117]
	v_add_f64 v[12:13], v[12:13], v[52:53]
	v_add_f64 v[14:15], v[14:15], v[54:55]
	v_fma_f64 v[52:53], v[82:83], s[22:23], -v[158:159]
	v_add_f64 v[50:51], v[50:51], v[124:125]
	v_add_f64 v[126:127], v[150:151], v[126:127]
	;; [unrolled: 1-line block ×4, first 2 shown]
	v_fma_f64 v[150:151], v[84:85], s[12:13], v[174:175]
	v_add_f64 v[122:123], v[148:149], v[122:123]
	v_fma_f64 v[54:55], v[80:81], s[14:15], -v[160:161]
	v_fma_f64 v[158:159], v[82:83], s[14:15], v[162:163]
	v_fma_f64 v[198:199], v[84:85], s[14:15], -v[168:169]
	v_add_f64 v[202:203], v[234:235], v[214:215]
	v_add_f64 v[130:131], v[42:43], v[130:131]
	v_mul_f64 v[172:173], v[94:95], s[26:27]
	v_mul_f64 v[190:191], v[68:69], s[30:31]
	v_fma_f64 v[56:57], v[88:89], s[24:25], -v[134:135]
	v_fma_f64 v[132:133], v[66:67], s[24:25], -v[132:133]
	v_fma_f64 v[226:227], v[66:67], s[20:21], v[58:59]
	v_fma_f64 v[58:59], v[66:67], s[20:21], -v[58:59]
	v_fma_f64 v[238:239], v[72:73], s[12:13], -v[156:157]
	;; [unrolled: 1-line block ×3, first 2 shown]
	v_add_f64 v[12:13], v[12:13], v[32:33]
	v_add_f64 v[14:15], v[14:15], v[34:35]
	v_fma_f64 v[32:33], v[84:85], s[12:13], -v[174:175]
	v_add_f64 v[174:175], v[42:43], v[222:223]
	v_add_f64 v[52:53], v[52:53], v[126:127]
	;; [unrolled: 1-line block ×4, first 2 shown]
	v_fma_f64 v[124:125], v[74:75], s[12:13], v[182:183]
	v_add_f64 v[196:197], v[204:205], v[196:197]
	v_add_f64 v[204:205], v[240:241], v[210:211]
	;; [unrolled: 1-line block ×5, first 2 shown]
	v_mul_f64 v[136:137], v[92:93], s[28:29]
	v_mul_f64 v[28:29], v[102:103], s[36:37]
	;; [unrolled: 1-line block ×4, first 2 shown]
	v_fma_f64 v[208:209], v[86:87], s[22:23], v[120:121]
	v_fma_f64 v[146:147], v[80:81], s[20:21], v[146:147]
	v_fma_f64 v[162:163], v[82:83], s[14:15], -v[162:163]
	v_fma_f64 v[230:231], v[90:91], s[12:13], v[176:177]
	v_fma_f64 v[176:177], v[90:91], s[12:13], -v[176:177]
	v_add_f64 v[12:13], v[12:13], v[36:37]
	v_add_f64 v[14:15], v[14:15], v[38:39]
	v_fma_f64 v[36:37], v[90:91], s[0:1], -v[180:181]
	v_add_f64 v[126:127], v[236:237], v[174:175]
	v_add_f64 v[52:53], v[170:171], v[52:53]
	;; [unrolled: 1-line block ×3, first 2 shown]
	v_fma_f64 v[232:233], v[88:89], s[0:1], -v[178:179]
	v_add_f64 v[48:49], v[48:49], v[116:117]
	v_fma_f64 v[116:117], v[90:91], s[0:1], v[180:181]
	v_fma_f64 v[38:39], v[86:87], s[12:13], v[184:185]
	v_add_f64 v[16:17], v[40:41], v[16:17]
	v_add_f64 v[18:19], v[40:41], v[18:19]
	;; [unrolled: 1-line block ×7, first 2 shown]
	v_mul_f64 v[188:189], v[70:71], s[30:31]
	v_fma_f64 v[34:35], v[88:89], s[12:13], -v[172:173]
	v_add_f64 v[132:133], v[42:43], v[132:133]
	v_add_f64 v[56:57], v[56:57], v[142:143]
	;; [unrolled: 1-line block ×14, first 2 shown]
	v_fma_f64 v[36:37], v[72:73], s[12:13], v[156:157]
	v_mul_f64 v[138:139], v[100:101], s[38:39]
	v_fma_f64 v[64:65], v[90:91], s[24:25], v[136:137]
	v_add_f64 v[48:49], v[146:147], v[48:49]
	v_add_f64 v[146:147], v[208:209], v[196:197]
	;; [unrolled: 1-line block ×4, first 2 shown]
	v_fma_f64 v[126:127], v[72:73], s[14:15], -v[62:63]
	v_fma_f64 v[130:131], v[74:75], s[14:15], v[60:61]
	v_mul_f64 v[70:71], v[70:71], s[28:29]
	v_mul_f64 v[68:69], v[68:69], s[28:29]
	v_add_f64 v[12:13], v[12:13], v[5:6]
	v_add_f64 v[14:15], v[14:15], v[7:8]
	v_fma_f64 v[62:63], v[72:73], s[14:15], v[62:63]
	v_add_f64 v[104:105], v[200:201], v[104:105]
	v_fma_f64 v[60:61], v[74:75], s[14:15], -v[60:61]
	v_add_f64 v[58:59], v[238:239], v[106:107]
	v_add_f64 v[106:107], v[124:125], v[122:123]
	;; [unrolled: 1-line block ×5, first 2 shown]
	v_fma_f64 v[46:47], v[98:99], s[14:15], v[28:29]
	v_fma_f64 v[180:181], v[86:87], s[12:13], -v[184:185]
	v_fma_f64 v[184:185], v[80:81], s[0:1], -v[188:189]
	v_add_f64 v[34:35], v[34:35], v[144:145]
	v_fma_f64 v[152:153], v[72:73], s[24:25], v[152:153]
	v_fma_f64 v[66:67], v[96:97], s[20:21], -v[138:139]
	v_add_f64 v[64:65], v[64:65], v[146:147]
	v_fma_f64 v[146:147], v[82:83], s[0:1], -v[190:191]
	v_add_f64 v[44:45], v[126:127], v[44:45]
	v_add_f64 v[126:127], v[130:131], v[142:143]
	v_fma_f64 v[130:131], v[80:81], s[24:25], -v[70:71]
	v_fma_f64 v[142:143], v[82:83], s[24:25], v[68:69]
	v_add_f64 v[1:2], v[12:13], v[1:2]
	v_add_f64 v[3:4], v[14:15], v[3:4]
	v_fma_f64 v[12:13], v[82:83], s[0:1], v[190:191]
	v_mul_f64 v[14:15], v[102:103], s[28:29]
	v_add_f64 v[50:51], v[116:117], v[104:105]
	v_fma_f64 v[104:105], v[98:99], s[14:15], -v[28:29]
	v_fma_f64 v[28:29], v[74:75], s[12:13], -v[182:183]
	;; [unrolled: 1-line block ×3, first 2 shown]
	v_add_f64 v[40:41], v[62:63], v[40:41]
	v_add_f64 v[42:43], v[60:61], v[42:43]
	v_fma_f64 v[60:61], v[80:81], s[24:25], v[70:71]
	v_fma_f64 v[68:69], v[82:83], s[24:25], -v[68:69]
	v_fma_f64 v[160:161], v[80:81], s[14:15], v[160:161]
	v_add_f64 v[58:59], v[184:185], v[58:59]
	v_fma_f64 v[82:83], v[82:83], s[12:13], -v[114:115]
	v_add_f64 v[16:17], v[152:153], v[16:17]
	v_fma_f64 v[168:169], v[84:85], s[14:15], v[168:169]
	v_add_f64 v[210:211], v[242:243], v[218:219]
	v_mul_f64 v[186:187], v[94:95], s[44:45]
	v_add_f64 v[5:6], v[66:67], v[56:57]
	v_mul_f64 v[66:67], v[92:93], s[44:45]
	v_mul_f64 v[114:115], v[92:93], s[36:37]
	v_add_f64 v[44:45], v[130:131], v[44:45]
	v_add_f64 v[126:127], v[142:143], v[126:127]
	;; [unrolled: 1-line block ×3, first 2 shown]
	v_fma_f64 v[106:107], v[98:99], s[24:25], v[14:15]
	v_fma_f64 v[144:145], v[98:99], s[24:25], -v[14:15]
	v_add_f64 v[14:15], v[36:37], v[18:19]
	v_mul_f64 v[18:19], v[78:79], s[44:45]
	v_fma_f64 v[36:37], v[72:73], s[0:1], v[108:109]
	v_mul_f64 v[72:73], v[76:77], s[44:45]
	v_add_f64 v[28:29], v[28:29], v[132:133]
	v_fma_f64 v[132:133], v[80:81], s[0:1], v[188:189]
	v_mul_f64 v[78:79], v[78:79], s[48:49]
	v_mul_f64 v[76:77], v[76:77], s[48:49]
	v_add_f64 v[26:27], v[74:75], v[26:27]
	v_fma_f64 v[80:81], v[80:81], s[12:13], v[112:113]
	v_mul_f64 v[74:75], v[94:95], s[36:37]
	v_mul_f64 v[94:95], v[94:95], s[10:11]
	;; [unrolled: 1-line block ×3, first 2 shown]
	v_add_f64 v[40:41], v[60:61], v[40:41]
	v_add_f64 v[42:43], v[68:69], v[42:43]
	v_mul_f64 v[140:141], v[102:103], s[38:39]
	v_fma_f64 v[164:165], v[84:85], s[24:25], v[164:165]
	v_add_f64 v[16:17], v[160:161], v[16:17]
	v_mul_f64 v[192:193], v[100:101], s[36:37]
	v_fma_f64 v[178:179], v[88:89], s[0:1], v[178:179]
	v_add_f64 v[152:153], v[250:251], v[210:211]
	v_add_f64 v[22:23], v[168:169], v[22:23]
	v_mul_f64 v[30:31], v[100:101], s[28:29]
	v_fma_f64 v[70:71], v[84:85], s[20:21], -v[18:19]
	v_add_f64 v[24:25], v[36:37], v[24:25]
	v_fma_f64 v[36:37], v[86:87], s[20:21], v[72:73]
	v_add_f64 v[28:29], v[146:147], v[28:29]
	v_add_f64 v[14:15], v[132:133], v[14:15]
	v_fma_f64 v[18:19], v[84:85], s[20:21], v[18:19]
	v_fma_f64 v[72:73], v[86:87], s[20:21], -v[72:73]
	v_fma_f64 v[130:131], v[84:85], s[0:1], -v[78:79]
	v_fma_f64 v[132:133], v[86:87], s[0:1], v[76:77]
	v_fma_f64 v[60:61], v[84:85], s[0:1], v[78:79]
	v_fma_f64 v[68:69], v[86:87], s[0:1], -v[76:77]
	v_add_f64 v[26:27], v[82:83], v[26:27]
	v_fma_f64 v[76:77], v[86:87], s[22:23], -v[120:121]
	v_fma_f64 v[148:149], v[88:89], s[20:21], -v[186:187]
	v_fma_f64 v[108:109], v[90:91], s[20:21], v[66:67]
	v_mul_f64 v[110:111], v[100:101], s[48:49]
	v_mul_f64 v[62:63], v[102:103], s[48:49]
	v_fma_f64 v[78:79], v[90:91], s[14:15], v[114:115]
	v_mul_f64 v[82:83], v[102:103], s[10:11]
	v_fma_f64 v[86:87], v[90:91], s[22:23], v[92:93]
	;; [unrolled: 2-line block ×3, first 2 shown]
	v_add_f64 v[58:59], v[70:71], v[58:59]
	v_add_f64 v[24:25], v[80:81], v[24:25]
	v_fma_f64 v[70:71], v[84:85], s[22:23], v[118:119]
	v_add_f64 v[12:13], v[36:37], v[12:13]
	v_fma_f64 v[36:37], v[88:89], s[14:15], -v[74:75]
	v_mul_f64 v[80:81], v[100:101], s[10:11]
	v_add_f64 v[14:15], v[18:19], v[14:15]
	v_add_f64 v[18:19], v[72:73], v[28:29]
	v_fma_f64 v[28:29], v[88:89], s[14:15], v[74:75]
	v_fma_f64 v[72:73], v[90:91], s[14:15], -v[114:115]
	v_add_f64 v[44:45], v[130:131], v[44:45]
	v_add_f64 v[74:75], v[132:133], v[126:127]
	v_fma_f64 v[84:85], v[88:89], s[22:23], -v[94:95]
	v_mul_f64 v[100:101], v[100:101], s[26:27]
	v_add_f64 v[40:41], v[60:61], v[40:41]
	v_add_f64 v[42:43], v[68:69], v[42:43]
	v_fma_f64 v[60:61], v[88:89], s[22:23], v[94:95]
	v_fma_f64 v[68:69], v[90:91], s[22:23], -v[92:93]
	v_fma_f64 v[172:173], v[88:89], s[12:13], v[172:173]
	v_add_f64 v[48:49], v[164:165], v[48:49]
	v_add_f64 v[54:55], v[180:181], v[54:55]
	v_fma_f64 v[66:67], v[90:91], s[20:21], -v[66:67]
	v_add_f64 v[26:27], v[76:77], v[26:27]
	v_fma_f64 v[76:77], v[90:91], s[24:25], -v[136:137]
	v_add_f64 v[24:25], v[70:71], v[24:25]
	v_fma_f64 v[70:71], v[88:89], s[24:25], v[134:135]
	v_add_f64 v[16:17], v[150:151], v[16:17]
	v_fma_f64 v[112:113], v[88:89], s[20:21], v[186:187]
	v_add_f64 v[122:123], v[230:231], v[152:153]
	v_add_f64 v[56:57], v[178:179], v[22:23]
	v_fma_f64 v[22:23], v[96:97], s[14:15], -v[192:193]
	v_fma_f64 v[116:117], v[96:97], s[24:25], -v[30:31]
	v_add_f64 v[32:33], v[148:149], v[32:33]
	v_fma_f64 v[30:31], v[96:97], s[24:25], v[30:31]
	v_add_f64 v[38:39], v[108:109], v[38:39]
	v_fma_f64 v[92:93], v[96:97], s[0:1], -v[110:111]
	v_fma_f64 v[94:95], v[98:99], s[0:1], v[62:63]
	v_add_f64 v[36:37], v[36:37], v[58:59]
	v_add_f64 v[58:59], v[78:79], v[12:13]
	v_fma_f64 v[78:79], v[96:97], s[22:23], -v[80:81]
	v_fma_f64 v[90:91], v[98:99], s[22:23], v[82:83]
	v_add_f64 v[18:19], v[72:73], v[18:19]
	v_add_f64 v[44:45], v[84:85], v[44:45]
	;; [unrolled: 1-line block ×3, first 2 shown]
	v_fma_f64 v[74:75], v[96:97], s[12:13], -v[100:101]
	v_fma_f64 v[84:85], v[98:99], s[12:13], v[102:103]
	v_add_f64 v[60:61], v[60:61], v[40:41]
	v_add_f64 v[68:69], v[68:69], v[42:43]
	v_fma_f64 v[86:87], v[96:97], s[12:13], v[100:101]
	v_fma_f64 v[100:101], v[98:99], s[12:13], -v[102:103]
	v_add_f64 v[48:49], v[172:173], v[48:49]
	v_add_f64 v[7:8], v[228:229], v[64:65]
	v_fma_f64 v[64:65], v[96:97], s[14:15], v[192:193]
	v_add_f64 v[54:55], v[66:67], v[54:55]
	v_fma_f64 v[66:67], v[96:97], s[0:1], v[110:111]
	v_add_f64 v[108:109], v[28:29], v[14:15]
	v_fma_f64 v[80:81], v[96:97], s[22:23], v[80:81]
	v_fma_f64 v[82:83], v[98:99], s[22:23], -v[82:83]
	v_fma_f64 v[62:63], v[98:99], s[0:1], -v[62:63]
	v_add_f64 v[70:71], v[70:71], v[24:25]
	v_add_f64 v[76:77], v[76:77], v[26:27]
	v_fma_f64 v[96:97], v[96:97], s[20:21], v[138:139]
	v_fma_f64 v[98:99], v[98:99], s[20:21], -v[140:141]
	v_add_f64 v[88:89], v[112:113], v[16:17]
	v_add_f64 v[12:13], v[22:23], v[34:35]
	;; [unrolled: 1-line block ×23, first 2 shown]
	ds_write_b128 v11, v[1:4]
	ds_write_b128 v11, v[5:8] offset:16
	ds_write_b128 v11, v[12:15] offset:32
	;; [unrolled: 1-line block ×7, first 2 shown]
	v_mul_u32_u24_e32 v1, 12, v9
	ds_write_b128 v11, v[48:51] offset:128
	ds_write_b128 v11, v[32:35] offset:144
	;; [unrolled: 1-line block ×4, first 2 shown]
	v_lshlrev_b32_e32 v1, 4, v1
	ds_write_b128 v11, v[52:55] offset:192
	s_waitcnt lgkmcnt(0)
	s_barrier
	buffer_gl0_inv
	s_clause 0xb
	global_load_dwordx4 v[11:14], v1, s[8:9]
	global_load_dwordx4 v[15:18], v1, s[8:9] offset:176
	global_load_dwordx4 v[19:22], v1, s[8:9] offset:16
	;; [unrolled: 1-line block ×11, first 2 shown]
	ds_read_b128 v[45:48], v129 offset:208
	ds_read_b128 v[65:68], v129 offset:2496
	;; [unrolled: 1-line block ×12, first 2 shown]
	ds_read_b128 v[1:4], v10
	s_waitcnt vmcnt(0) lgkmcnt(0)
	s_barrier
	buffer_gl0_inv
	v_mul_f64 v[5:6], v[45:46], v[13:14]
	v_mul_f64 v[7:8], v[65:66], v[17:18]
	;; [unrolled: 1-line block ×22, first 2 shown]
	v_fma_f64 v[132:133], v[47:48], v[11:12], v[5:6]
	v_fma_f64 v[5:6], v[67:68], v[15:16], v[7:8]
	v_fma_f64 v[67:68], v[45:46], v[11:12], -v[9:10]
	v_fma_f64 v[7:8], v[65:66], v[15:16], -v[13:14]
	;; [unrolled: 1-line block ×3, first 2 shown]
	v_fma_f64 v[95:96], v[71:72], v[19:20], v[21:22]
	v_fma_f64 v[11:12], v[73:74], v[23:24], -v[39:40]
	v_fma_f64 v[9:10], v[75:76], v[23:24], v[25:26]
	v_fma_f64 v[45:46], v[77:78], v[27:28], -v[113:114]
	;; [unrolled: 2-line block ×4, first 2 shown]
	v_fma_f64 v[29:30], v[107:108], v[61:62], v[63:64]
	v_fma_f64 v[13:14], v[87:88], v[35:36], v[117:118]
	v_fma_f64 v[15:16], v[85:86], v[35:36], -v[119:120]
	v_mul_f64 v[121:122], v[91:92], v[43:44]
	v_fma_f64 v[19:20], v[97:98], v[49:50], -v[51:52]
	v_fma_f64 v[27:28], v[101:102], v[53:54], -v[125:126]
	v_fma_f64 v[23:24], v[103:104], v[53:54], v[55:56]
	v_fma_f64 v[21:22], v[111:112], v[57:58], v[127:128]
	v_fma_f64 v[25:26], v[109:110], v[57:58], -v[59:60]
	v_add_f64 v[107:108], v[3:4], v[132:133]
	v_add_f64 v[77:78], v[132:133], -v[5:6]
	v_add_f64 v[105:106], v[1:2], v[67:68]
	v_add_f64 v[79:80], v[67:68], -v[7:8]
	v_add_f64 v[61:62], v[67:68], v[7:8]
	v_add_f64 v[57:58], v[132:133], v[5:6]
	v_add_f64 v[97:98], v[93:94], -v[11:12]
	v_add_f64 v[103:104], v[95:96], -v[9:10]
	v_add_f64 v[55:56], v[93:94], v[11:12]
	v_add_f64 v[53:54], v[95:96], v[9:10]
	v_mul_f64 v[43:44], v[89:90], v[43:44]
	v_fma_f64 v[17:18], v[99:100], v[49:50], v[123:124]
	v_add_f64 v[101:102], v[47:48], -v[13:14]
	v_add_f64 v[65:66], v[45:46], v[15:16]
	v_add_f64 v[99:100], v[45:46], -v[15:16]
	v_add_f64 v[59:60], v[47:48], v[13:14]
	v_fma_f64 v[35:36], v[89:90], v[41:42], -v[121:122]
	v_add_f64 v[69:70], v[39:40], -v[19:20]
	v_add_f64 v[81:82], v[23:24], -v[29:30]
	v_add_f64 v[73:74], v[27:28], v[31:32]
	v_add_f64 v[95:96], v[107:108], v[95:96]
	v_mul_f64 v[130:131], v[77:78], s[46:47]
	v_mul_f64 v[134:135], v[77:78], s[30:31]
	;; [unrolled: 1-line block ×5, first 2 shown]
	v_add_f64 v[93:94], v[105:106], v[93:94]
	v_mul_f64 v[127:128], v[103:104], s[30:31]
	v_mul_f64 v[125:126], v[97:98], s[30:31]
	;; [unrolled: 1-line block ×14, first 2 shown]
	v_fma_f64 v[33:34], v[91:92], v[41:42], v[43:44]
	v_add_f64 v[47:48], v[95:96], v[47:48]
	v_fma_f64 v[198:199], v[61:62], s[14:15], -v[130:131]
	v_fma_f64 v[202:203], v[61:62], s[0:1], -v[134:135]
	v_fma_f64 v[200:201], v[57:58], s[14:15], v[132:133]
	v_fma_f64 v[134:135], v[61:62], s[0:1], v[134:135]
	v_fma_f64 v[204:205], v[61:62], s[12:13], -v[136:137]
	v_fma_f64 v[212:213], v[57:58], s[0:1], v[142:143]
	v_fma_f64 v[142:143], v[57:58], s[0:1], -v[142:143]
	v_add_f64 v[45:46], v[93:94], v[45:46]
	v_add_f64 v[67:68], v[37:38], -v[17:18]
	v_add_f64 v[41:42], v[39:40], v[19:20]
	v_add_f64 v[43:44], v[37:38], v[17:18]
	v_mul_f64 v[152:153], v[79:80], s[38:39]
	v_mul_f64 v[123:124], v[101:102], s[34:35]
	;; [unrolled: 1-line block ×13, first 2 shown]
	v_fma_f64 v[130:131], v[61:62], s[14:15], v[130:131]
	v_fma_f64 v[206:207], v[55:56], s[0:1], -v[127:128]
	v_fma_f64 v[208:209], v[53:54], s[0:1], v[125:126]
	v_fma_f64 v[136:137], v[61:62], s[12:13], v[136:137]
	v_fma_f64 v[210:211], v[61:62], s[22:23], -v[138:139]
	v_fma_f64 v[138:139], v[61:62], s[22:23], v[138:139]
	v_fma_f64 v[214:215], v[61:62], s[24:25], -v[140:141]
	v_fma_f64 v[140:141], v[61:62], s[24:25], v[140:141]
	v_fma_f64 v[216:217], v[57:58], s[12:13], v[146:147]
	v_fma_f64 v[218:219], v[61:62], s[20:21], -v[144:145]
	v_fma_f64 v[146:147], v[57:58], s[12:13], -v[146:147]
	v_fma_f64 v[61:62], v[61:62], s[20:21], v[144:145]
	v_fma_f64 v[144:145], v[57:58], s[22:23], v[148:149]
	;; [unrolled: 1-line block ×3, first 2 shown]
	v_fma_f64 v[150:151], v[57:58], s[24:25], -v[150:151]
	v_fma_f64 v[226:227], v[55:56], s[22:23], -v[154:155]
	v_fma_f64 v[93:94], v[55:56], s[22:23], v[154:155]
	v_fma_f64 v[95:96], v[55:56], s[20:21], -v[105:106]
	v_fma_f64 v[105:106], v[55:56], s[20:21], v[105:106]
	;; [unrolled: 2-line block ×5, first 2 shown]
	v_fma_f64 v[55:56], v[55:56], s[0:1], v[127:128]
	v_fma_f64 v[127:128], v[53:54], s[22:23], -v[156:157]
	v_add_f64 v[198:199], v[1:2], v[198:199]
	v_add_f64 v[200:201], v[3:4], v[200:201]
	;; [unrolled: 1-line block ×8, first 2 shown]
	v_add_f64 v[51:52], v[33:34], -v[21:22]
	v_add_f64 v[49:50], v[35:36], v[25:26]
	v_add_f64 v[71:72], v[35:36], -v[25:26]
	v_add_f64 v[63:64], v[33:34], v[21:22]
	v_mul_f64 v[89:90], v[67:68], s[10:11]
	v_mul_f64 v[91:92], v[69:70], s[10:11]
	;; [unrolled: 1-line block ×6, first 2 shown]
	v_fma_f64 v[132:133], v[57:58], s[14:15], -v[132:133]
	v_fma_f64 v[148:149], v[57:58], s[22:23], -v[148:149]
	v_fma_f64 v[222:223], v[57:58], s[20:21], v[152:153]
	v_fma_f64 v[57:58], v[57:58], s[20:21], -v[152:153]
	v_fma_f64 v[152:153], v[65:66], s[12:13], -v[123:124]
	v_fma_f64 v[224:225], v[59:60], s[12:13], v[121:122]
	v_fma_f64 v[228:229], v[53:54], s[22:23], v[156:157]
	v_fma_f64 v[230:231], v[65:66], s[20:21], -v[158:159]
	v_fma_f64 v[156:157], v[53:54], s[20:21], v[164:165]
	v_fma_f64 v[164:165], v[53:54], s[20:21], -v[164:165]
	;; [unrolled: 2-line block ×5, first 2 shown]
	v_fma_f64 v[53:54], v[53:54], s[0:1], -v[125:126]
	v_fma_f64 v[125:126], v[65:66], s[20:21], v[158:159]
	v_fma_f64 v[158:159], v[65:66], s[22:23], -v[170:171]
	v_fma_f64 v[170:171], v[65:66], s[22:23], v[170:171]
	v_fma_f64 v[244:245], v[65:66], s[14:15], -v[172:173]
	v_fma_f64 v[172:173], v[65:66], s[14:15], v[172:173]
	v_fma_f64 v[246:247], v[65:66], s[0:1], -v[174:175]
	v_fma_f64 v[174:175], v[65:66], s[0:1], v[174:175]
	v_fma_f64 v[248:249], v[65:66], s[24:25], -v[101:102]
	v_fma_f64 v[101:102], v[65:66], s[24:25], v[101:102]
	v_fma_f64 v[65:66], v[65:66], s[12:13], v[123:124]
	v_fma_f64 v[123:124], v[59:60], s[20:21], -v[160:161]
	v_add_f64 v[212:213], v[3:4], v[212:213]
	v_add_f64 v[136:137], v[1:2], v[136:137]
	;; [unrolled: 1-line block ×16, first 2 shown]
	v_add_f64 v[83:84], v[27:28], -v[31:32]
	v_add_f64 v[75:76], v[23:24], v[29:30]
	v_mul_f64 v[85:86], v[51:52], s[28:29]
	v_mul_f64 v[87:88], v[71:72], s[28:29]
	;; [unrolled: 1-line block ×9, first 2 shown]
	v_fma_f64 v[232:233], v[59:60], s[20:21], v[160:161]
	v_fma_f64 v[160:161], v[59:60], s[22:23], v[176:177]
	v_fma_f64 v[176:177], v[59:60], s[22:23], -v[176:177]
	v_add_f64 v[148:149], v[3:4], v[148:149]
	v_add_f64 v[214:215], v[1:2], v[214:215]
	;; [unrolled: 1-line block ×4, first 2 shown]
	v_fma_f64 v[142:143], v[41:42], s[22:23], -v[89:90]
	v_fma_f64 v[204:205], v[43:44], s[22:23], v[91:92]
	v_add_f64 v[105:106], v[105:106], v[136:137]
	v_add_f64 v[146:147], v[164:165], v[146:147]
	;; [unrolled: 1-line block ×4, first 2 shown]
	v_fma_f64 v[238:239], v[41:42], s[24:25], -v[117:118]
	v_add_f64 v[107:108], v[107:108], v[138:139]
	v_fma_f64 v[138:139], v[43:44], s[24:25], v[119:120]
	v_fma_f64 v[117:118], v[41:42], s[24:25], v[117:118]
	v_fma_f64 v[119:120], v[43:44], s[24:25], -v[119:120]
	v_add_f64 v[150:151], v[168:169], v[150:151]
	v_fma_f64 v[168:169], v[41:42], s[14:15], -v[182:183]
	v_add_f64 v[152:153], v[152:153], v[198:199]
	v_add_f64 v[200:201], v[224:225], v[200:201]
	;; [unrolled: 1-line block ×8, first 2 shown]
	v_mul_f64 v[184:185], v[69:70], s[36:37]
	v_add_f64 v[156:157], v[156:157], v[216:217]
	v_mul_f64 v[77:78], v[81:82], s[38:39]
	v_mul_f64 v[113:114], v[81:82], s[36:37]
	v_fma_f64 v[250:251], v[59:60], s[14:15], v[178:179]
	v_fma_f64 v[178:179], v[59:60], s[14:15], -v[178:179]
	v_add_f64 v[130:131], v[1:2], v[130:131]
	v_add_f64 v[132:133], v[3:4], v[132:133]
	;; [unrolled: 1-line block ×7, first 2 shown]
	v_fma_f64 v[57:58], v[59:60], s[0:1], v[180:181]
	v_fma_f64 v[61:62], v[59:60], s[0:1], -v[180:181]
	v_fma_f64 v[180:181], v[59:60], s[24:25], v[99:100]
	v_fma_f64 v[99:100], v[59:60], s[24:25], -v[99:100]
	v_fma_f64 v[59:60], v[59:60], s[12:13], -v[121:122]
	v_mul_f64 v[121:122], v[51:52], s[44:45]
	v_fma_f64 v[216:217], v[49:50], s[24:25], -v[85:86]
	v_fma_f64 v[136:137], v[63:64], s[24:25], v[87:88]
	v_add_f64 v[148:149], v[166:167], v[148:149]
	v_fma_f64 v[166:167], v[49:50], s[12:13], -v[109:110]
	v_add_f64 v[214:215], v[234:235], v[214:215]
	v_fma_f64 v[234:235], v[63:64], s[12:13], v[111:112]
	v_add_f64 v[140:141], v[162:163], v[140:141]
	v_fma_f64 v[37:38], v[41:42], s[12:13], -v[186:187]
	v_fma_f64 v[109:110], v[49:50], s[12:13], v[109:110]
	v_fma_f64 v[111:112], v[63:64], s[12:13], -v[111:112]
	v_add_f64 v[212:213], v[232:233], v[212:213]
	v_fma_f64 v[232:233], v[49:50], s[0:1], -v[194:195]
	v_add_f64 v[33:34], v[170:171], v[105:106]
	v_add_f64 v[105:106], v[176:177], v[146:147]
	;; [unrolled: 1-line block ×11, first 2 shown]
	v_mul_f64 v[79:80], v[83:84], s[38:39]
	v_mul_f64 v[188:189], v[69:70], s[34:35]
	;; [unrolled: 1-line block ×3, first 2 shown]
	v_fma_f64 v[39:40], v[43:44], s[14:15], v[184:185]
	v_add_f64 v[156:157], v[160:161], v[156:157]
	v_mul_f64 v[190:191], v[67:68], s[44:45]
	v_mul_f64 v[192:193], v[69:70], s[44:45]
	;; [unrolled: 1-line block ×4, first 2 shown]
	v_fma_f64 v[164:165], v[73:74], s[20:21], -v[77:78]
	v_add_f64 v[220:221], v[240:241], v[220:221]
	v_fma_f64 v[240:241], v[73:74], s[14:15], -v[113:114]
	v_fma_f64 v[127:128], v[49:50], s[20:21], -v[121:122]
	v_add_f64 v[103:104], v[103:104], v[1:2]
	v_add_f64 v[97:98], v[97:98], v[3:4]
	;; [unrolled: 1-line block ×12, first 2 shown]
	v_mul_f64 v[45:46], v[71:72], s[44:45]
	v_fma_f64 v[210:211], v[75:76], s[20:21], v[79:80]
	v_fma_f64 v[198:199], v[43:44], s[12:13], v[188:189]
	;; [unrolled: 1-line block ×3, first 2 shown]
	v_fma_f64 v[188:189], v[43:44], s[12:13], -v[188:189]
	v_fma_f64 v[113:114], v[73:74], s[14:15], v[113:114]
	v_add_f64 v[117:118], v[236:237], v[218:219]
	v_add_f64 v[1:2], v[172:173], v[107:108]
	;; [unrolled: 1-line block ×5, first 2 shown]
	v_fma_f64 v[125:126], v[63:64], s[0:1], v[196:197]
	v_add_f64 v[170:171], v[242:243], v[222:223]
	v_add_f64 v[39:40], v[39:40], v[156:157]
	v_mul_f64 v[228:229], v[51:52], s[36:37]
	v_mul_f64 v[134:135], v[71:72], s[36:37]
	v_fma_f64 v[182:183], v[41:42], s[14:15], v[182:183]
	v_add_f64 v[37:38], v[127:128], v[37:38]
	v_add_f64 v[21:22], v[164:165], v[119:120]
	;; [unrolled: 1-line block ×3, first 2 shown]
	v_fma_f64 v[119:120], v[49:50], s[20:21], v[121:122]
	v_fma_f64 v[121:122], v[41:42], s[20:21], v[190:191]
	v_fma_f64 v[127:128], v[41:42], s[0:1], -v[67:68]
	v_add_f64 v[19:20], v[140:141], v[19:20]
	v_fma_f64 v[136:137], v[43:44], s[0:1], v[69:70]
	v_mul_f64 v[51:52], v[51:52], s[10:11]
	v_add_f64 v[17:18], v[95:96], v[17:18]
	v_mul_f64 v[71:72], v[71:72], s[10:11]
	v_add_f64 v[95:96], v[101:102], v[103:104]
	v_add_f64 v[97:98], v[99:100], v[97:98]
	v_fma_f64 v[67:68], v[41:42], s[0:1], v[67:68]
	v_fma_f64 v[69:70], v[43:44], s[0:1], -v[69:70]
	v_fma_f64 v[184:185], v[43:44], s[14:15], -v[184:185]
	;; [unrolled: 1-line block ×3, first 2 shown]
	v_fma_f64 v[230:231], v[43:44], s[20:21], v[192:193]
	v_fma_f64 v[158:159], v[63:64], s[20:21], v[45:46]
	v_add_f64 v[144:145], v[250:251], v[144:145]
	v_add_f64 v[107:108], v[246:247], v[214:215]
	;; [unrolled: 1-line block ×9, first 2 shown]
	v_fma_f64 v[123:124], v[43:44], s[20:21], -v[192:193]
	v_fma_f64 v[45:46], v[63:64], s[20:21], -v[45:46]
	v_add_f64 v[55:56], v[65:66], v[55:56]
	v_add_f64 v[53:54], v[59:60], v[53:54]
	v_fma_f64 v[41:42], v[41:42], s[22:23], v[89:90]
	v_fma_f64 v[43:44], v[43:44], s[22:23], -v[91:92]
	v_add_f64 v[39:40], v[125:126], v[39:40]
	v_add_f64 v[125:126], v[180:181], v[170:171]
	v_mul_f64 v[115:116], v[83:84], s[36:37]
	v_mul_f64 v[47:48], v[81:82], s[28:29]
	;; [unrolled: 1-line block ×4, first 2 shown]
	v_fma_f64 v[194:195], v[49:50], s[0:1], v[194:195]
	v_add_f64 v[29:30], v[182:183], v[33:34]
	v_mul_f64 v[59:60], v[81:82], s[10:11]
	v_add_f64 v[89:90], v[121:122], v[109:110]
	v_fma_f64 v[91:92], v[49:50], s[14:15], v[228:229]
	v_fma_f64 v[121:122], v[49:50], s[22:23], -v[51:52]
	v_add_f64 v[15:16], v[19:20], v[15:16]
	v_add_f64 v[13:14], v[17:18], v[13:14]
	v_fma_f64 v[17:18], v[63:64], s[22:23], v[71:72]
	v_mul_f64 v[19:20], v[81:82], s[26:27]
	v_mul_f64 v[81:82], v[83:84], s[26:27]
	v_add_f64 v[67:68], v[67:68], v[95:96]
	v_add_f64 v[69:70], v[69:70], v[97:98]
	v_fma_f64 v[51:52], v[49:50], s[22:23], v[51:52]
	v_fma_f64 v[71:72], v[63:64], s[22:23], -v[71:72]
	v_mul_f64 v[226:227], v[83:84], s[48:49]
	v_fma_f64 v[196:197], v[63:64], s[0:1], -v[196:197]
	v_add_f64 v[33:34], v[184:185], v[105:106]
	v_add_f64 v[105:106], v[198:199], v[144:145]
	v_add_f64 v[107:108], v[224:225], v[107:108]
	v_add_f64 v[57:58], v[230:231], v[57:58]
	v_fma_f64 v[99:100], v[49:50], s[14:15], -v[228:229]
	v_fma_f64 v[101:102], v[63:64], s[14:15], v[134:135]
	v_mul_f64 v[65:66], v[83:84], s[10:11]
	v_add_f64 v[61:62], v[123:124], v[61:62]
	v_fma_f64 v[103:104], v[63:64], s[14:15], -v[134:135]
	v_add_f64 v[109:110], v[127:128], v[113:114]
	v_add_f64 v[95:96], v[45:46], v[132:133]
	;; [unrolled: 1-line block ×4, first 2 shown]
	v_fma_f64 v[45:46], v[49:50], s[24:25], v[85:86]
	v_fma_f64 v[49:50], v[63:64], s[24:25], -v[87:88]
	v_add_f64 v[138:139], v[138:139], v[212:213]
	v_add_f64 v[113:114], v[136:137], v[125:126]
	v_fma_f64 v[162:163], v[75:76], s[14:15], v[115:116]
	v_fma_f64 v[115:116], v[75:76], s[14:15], -v[115:116]
	v_fma_f64 v[160:161], v[73:74], s[24:25], -v[47:48]
	v_fma_f64 v[35:36], v[75:76], s[24:25], v[206:207]
	v_fma_f64 v[47:48], v[73:74], s[24:25], v[47:48]
	v_add_f64 v[29:30], v[194:195], v[29:30]
	v_add_f64 v[87:88], v[91:92], v[89:90]
	;; [unrolled: 1-line block ×6, first 2 shown]
	v_fma_f64 v[69:70], v[73:74], s[12:13], v[19:20]
	v_fma_f64 v[71:72], v[75:76], s[12:13], -v[81:82]
	v_fma_f64 v[206:207], v[75:76], s[24:25], -v[206:207]
	v_add_f64 v[33:34], v[196:197], v[33:34]
	v_add_f64 v[105:106], v[158:159], v[105:106]
	v_fma_f64 v[93:94], v[73:74], s[0:1], -v[208:209]
	v_fma_f64 v[117:118], v[75:76], s[0:1], v[226:227]
	v_add_f64 v[83:84], v[119:120], v[130:131]
	v_fma_f64 v[53:54], v[73:74], s[0:1], v[208:209]
	v_add_f64 v[55:56], v[99:100], v[107:108]
	v_add_f64 v[57:58], v[101:102], v[57:58]
	v_fma_f64 v[63:64], v[73:74], s[22:23], -v[59:60]
	v_fma_f64 v[85:86], v[75:76], s[22:23], v[65:66]
	v_add_f64 v[61:62], v[103:104], v[61:62]
	v_fma_f64 v[59:60], v[73:74], s[22:23], v[59:60]
	v_add_f64 v[97:98], v[121:122], v[109:110]
	v_fma_f64 v[101:102], v[73:74], s[12:13], -v[19:20]
	v_fma_f64 v[103:104], v[75:76], s[12:13], v[81:82]
	v_fma_f64 v[65:66], v[75:76], s[22:23], -v[65:66]
	v_fma_f64 v[81:82], v[75:76], s[0:1], -v[226:227]
	v_add_f64 v[107:108], v[45:46], v[41:42]
	v_add_f64 v[109:110], v[49:50], v[43:44]
	v_fma_f64 v[73:74], v[73:74], s[20:21], v[77:78]
	v_fma_f64 v[75:76], v[75:76], s[20:21], -v[79:80]
	v_add_f64 v[138:139], v[234:235], v[138:139]
	v_add_f64 v[99:100], v[17:18], v[113:114]
	v_mul_hi_u32 v1, 0x15555556, v0
	v_add_f64 v[9:10], v[160:161], v[31:32]
	v_add_f64 v[11:12], v[35:36], v[39:40]
	v_add_f64 v[13:14], v[47:48], v[29:30]
	v_add_f64 v[29:30], v[89:90], v[7:8]
	v_add_f64 v[31:32], v[91:92], v[5:6]
	v_add_f64 v[49:50], v[69:70], v[51:52]
	v_add_f64 v[51:52], v[71:72], v[67:68]
	v_add_f64 v[4:5], v[115:116], v[111:112]
	v_mul_u32_u24_e32 v6, 12, v1
	v_add_f64 v[15:16], v[206:207], v[33:34]
	v_add_f64 v[17:18], v[93:94], v[37:38]
	;; [unrolled: 1-line block ×14, first 2 shown]
	v_sub_nc_u32_e32 v0, v0, v6
	ds_write_b128 v129, v[29:32]
	ds_write_b128 v129, v[21:24] offset:208
	ds_write_b128 v129, v[25:28] offset:416
	v_add_nc_u32_e32 v6, s19, v0
	ds_write_b128 v129, v[9:12] offset:624
	ds_write_b128 v129, v[17:20] offset:832
	;; [unrolled: 1-line block ×10, first 2 shown]
	s_waitcnt lgkmcnt(0)
	v_cmp_gt_u32_e32 vcc_lo, s33, v6
	s_barrier
	buffer_gl0_inv
	s_or_b32 s0, s51, vcc_lo
	s_and_saveexec_b32 s1, s0
	s_cbranch_execz .LBB0_16
; %bb.15:
	v_mad_u64_u32 v[2:3], null, s16, v0, 0
	v_mul_i32_i24_e32 v4, 0xa90, v0
	v_mul_lo_u32 v20, v1, s18
	v_lshlrev_b32_e32 v5, 4, v1
	s_mul_i32 s1, s7, s50
	s_mul_hi_u32 s7, s6, s50
	s_mul_i32 s0, s6, s50
	v_mad_u64_u32 v[0:1], null, s17, v0, v[3:4]
	s_add_i32 s1, s7, s1
	v_mov_b32_e32 v21, 0
	s_lshl_b64 s[0:1], s[0:1], 4
	s_mul_i32 s6, s18, 13
	s_add_u32 s2, s2, s0
	s_addc_u32 s3, s3, s1
	v_mov_b32_e32 v3, v0
	s_lshl_b64 s[0:1], s[4:5], 4
	v_lshlrev_b64 v[8:9], 4, v[20:21]
	s_add_u32 s0, s2, s0
	s_addc_u32 s1, s3, s1
	v_lshlrev_b64 v[10:11], 4, v[2:3]
	v_add3_u32 v28, 0, v4, v5
	v_add_nc_u32_e32 v20, s6, v20
	ds_read_b128 v[0:3], v28
	ds_read_b128 v[4:7], v28 offset:208
	v_add_co_u32 v30, vcc_lo, s0, v10
	v_add_co_ci_u32_e32 v31, vcc_lo, s1, v11, vcc_lo
	v_lshlrev_b64 v[16:17], 4, v[20:21]
	v_add_co_u32 v22, vcc_lo, v30, v8
	v_add_nc_u32_e32 v20, s6, v20
	v_add_co_ci_u32_e32 v23, vcc_lo, v31, v9, vcc_lo
	ds_read_b128 v[8:11], v28 offset:416
	ds_read_b128 v[12:15], v28 offset:624
	v_add_co_u32 v16, vcc_lo, v30, v16
	v_lshlrev_b64 v[18:19], 4, v[20:21]
	v_add_nc_u32_e32 v20, s6, v20
	v_add_co_ci_u32_e32 v17, vcc_lo, v31, v17, vcc_lo
	v_lshlrev_b64 v[24:25], 4, v[20:21]
	v_add_nc_u32_e32 v20, s6, v20
	v_add_co_u32 v18, vcc_lo, v30, v18
	v_add_co_ci_u32_e32 v19, vcc_lo, v31, v19, vcc_lo
	v_add_co_u32 v24, vcc_lo, v30, v24
	v_lshlrev_b64 v[26:27], 4, v[20:21]
	v_add_nc_u32_e32 v20, s6, v20
	v_add_co_ci_u32_e32 v25, vcc_lo, v31, v25, vcc_lo
	s_waitcnt lgkmcnt(3)
	global_store_dwordx4 v[22:23], v[0:3], off
	s_waitcnt lgkmcnt(2)
	global_store_dwordx4 v[16:17], v[4:7], off
	;; [unrolled: 2-line block ×4, first 2 shown]
	ds_read_b128 v[0:3], v28 offset:832
	ds_read_b128 v[4:7], v28 offset:1040
	v_lshlrev_b64 v[16:17], 4, v[20:21]
	v_add_nc_u32_e32 v20, s6, v20
	ds_read_b128 v[8:11], v28 offset:1248
	ds_read_b128 v[12:15], v28 offset:1456
	v_add_co_u32 v18, vcc_lo, v30, v26
	v_add_co_ci_u32_e32 v19, vcc_lo, v31, v27, vcc_lo
	v_lshlrev_b64 v[22:23], 4, v[20:21]
	v_add_nc_u32_e32 v20, s6, v20
	v_add_co_u32 v16, vcc_lo, v30, v16
	v_add_co_ci_u32_e32 v17, vcc_lo, v31, v17, vcc_lo
	v_lshlrev_b64 v[24:25], 4, v[20:21]
	v_add_nc_u32_e32 v20, s6, v20
	;; [unrolled: 4-line block ×3, first 2 shown]
	v_add_co_u32 v24, vcc_lo, v30, v24
	v_add_co_ci_u32_e32 v25, vcc_lo, v31, v25, vcc_lo
	s_waitcnt lgkmcnt(3)
	global_store_dwordx4 v[18:19], v[0:3], off
	s_waitcnt lgkmcnt(2)
	global_store_dwordx4 v[16:17], v[4:7], off
	;; [unrolled: 2-line block ×4, first 2 shown]
	v_lshlrev_b64 v[8:9], 4, v[20:21]
	v_add_co_u32 v22, vcc_lo, v30, v26
	v_add_nc_u32_e32 v20, s6, v20
	v_add_co_ci_u32_e32 v23, vcc_lo, v31, v27, vcc_lo
	v_add_co_u32 v26, vcc_lo, v30, v8
	ds_read_b128 v[0:3], v28 offset:1664
	ds_read_b128 v[4:7], v28 offset:1872
	v_add_co_ci_u32_e32 v27, vcc_lo, v31, v9, vcc_lo
	ds_read_b128 v[8:11], v28 offset:2080
	ds_read_b128 v[12:15], v28 offset:2288
	;; [unrolled: 1-line block ×3, first 2 shown]
	v_lshlrev_b64 v[24:25], 4, v[20:21]
	v_add_nc_u32_e32 v20, s6, v20
	v_lshlrev_b64 v[28:29], 4, v[20:21]
	v_add_nc_u32_e32 v20, s6, v20
	v_add_co_u32 v24, vcc_lo, v30, v24
	v_add_co_ci_u32_e32 v25, vcc_lo, v31, v25, vcc_lo
	v_lshlrev_b64 v[20:21], 4, v[20:21]
	v_add_co_u32 v28, vcc_lo, v30, v28
	v_add_co_ci_u32_e32 v29, vcc_lo, v31, v29, vcc_lo
	v_add_co_u32 v20, vcc_lo, v30, v20
	v_add_co_ci_u32_e32 v21, vcc_lo, v31, v21, vcc_lo
	s_waitcnt lgkmcnt(4)
	global_store_dwordx4 v[22:23], v[0:3], off
	s_waitcnt lgkmcnt(3)
	global_store_dwordx4 v[26:27], v[4:7], off
	;; [unrolled: 2-line block ×5, first 2 shown]
.LBB0_16:
	s_endpgm
	.section	.rodata,"a",@progbits
	.p2align	6, 0x0
	.amdhsa_kernel fft_rtc_fwd_len169_factors_13_13_wgs_156_tpt_13_dp_op_CI_CI_sbrc_unaligned
		.amdhsa_group_segment_fixed_size 0
		.amdhsa_private_segment_fixed_size 0
		.amdhsa_kernarg_size 104
		.amdhsa_user_sgpr_count 6
		.amdhsa_user_sgpr_private_segment_buffer 1
		.amdhsa_user_sgpr_dispatch_ptr 0
		.amdhsa_user_sgpr_queue_ptr 0
		.amdhsa_user_sgpr_kernarg_segment_ptr 1
		.amdhsa_user_sgpr_dispatch_id 0
		.amdhsa_user_sgpr_flat_scratch_init 0
		.amdhsa_user_sgpr_private_segment_size 0
		.amdhsa_wavefront_size32 1
		.amdhsa_uses_dynamic_stack 0
		.amdhsa_system_sgpr_private_segment_wavefront_offset 0
		.amdhsa_system_sgpr_workgroup_id_x 1
		.amdhsa_system_sgpr_workgroup_id_y 0
		.amdhsa_system_sgpr_workgroup_id_z 0
		.amdhsa_system_sgpr_workgroup_info 0
		.amdhsa_system_vgpr_workitem_id 0
		.amdhsa_next_free_vgpr 252
		.amdhsa_next_free_sgpr 52
		.amdhsa_reserve_vcc 1
		.amdhsa_reserve_flat_scratch 0
		.amdhsa_float_round_mode_32 0
		.amdhsa_float_round_mode_16_64 0
		.amdhsa_float_denorm_mode_32 3
		.amdhsa_float_denorm_mode_16_64 3
		.amdhsa_dx10_clamp 1
		.amdhsa_ieee_mode 1
		.amdhsa_fp16_overflow 0
		.amdhsa_workgroup_processor_mode 1
		.amdhsa_memory_ordered 1
		.amdhsa_forward_progress 0
		.amdhsa_shared_vgpr_count 0
		.amdhsa_exception_fp_ieee_invalid_op 0
		.amdhsa_exception_fp_denorm_src 0
		.amdhsa_exception_fp_ieee_div_zero 0
		.amdhsa_exception_fp_ieee_overflow 0
		.amdhsa_exception_fp_ieee_underflow 0
		.amdhsa_exception_fp_ieee_inexact 0
		.amdhsa_exception_int_div_zero 0
	.end_amdhsa_kernel
	.text
.Lfunc_end0:
	.size	fft_rtc_fwd_len169_factors_13_13_wgs_156_tpt_13_dp_op_CI_CI_sbrc_unaligned, .Lfunc_end0-fft_rtc_fwd_len169_factors_13_13_wgs_156_tpt_13_dp_op_CI_CI_sbrc_unaligned
                                        ; -- End function
	.section	.AMDGPU.csdata,"",@progbits
; Kernel info:
; codeLenInByte = 11816
; NumSgprs: 54
; NumVgprs: 252
; ScratchSize: 0
; MemoryBound: 0
; FloatMode: 240
; IeeeMode: 1
; LDSByteSize: 0 bytes/workgroup (compile time only)
; SGPRBlocks: 6
; VGPRBlocks: 31
; NumSGPRsForWavesPerEU: 54
; NumVGPRsForWavesPerEU: 252
; Occupancy: 4
; WaveLimiterHint : 1
; COMPUTE_PGM_RSRC2:SCRATCH_EN: 0
; COMPUTE_PGM_RSRC2:USER_SGPR: 6
; COMPUTE_PGM_RSRC2:TRAP_HANDLER: 0
; COMPUTE_PGM_RSRC2:TGID_X_EN: 1
; COMPUTE_PGM_RSRC2:TGID_Y_EN: 0
; COMPUTE_PGM_RSRC2:TGID_Z_EN: 0
; COMPUTE_PGM_RSRC2:TIDIG_COMP_CNT: 0
	.text
	.p2alignl 6, 3214868480
	.fill 48, 4, 3214868480
	.type	__hip_cuid_cf93b22185668518,@object ; @__hip_cuid_cf93b22185668518
	.section	.bss,"aw",@nobits
	.globl	__hip_cuid_cf93b22185668518
__hip_cuid_cf93b22185668518:
	.byte	0                               ; 0x0
	.size	__hip_cuid_cf93b22185668518, 1

	.ident	"AMD clang version 19.0.0git (https://github.com/RadeonOpenCompute/llvm-project roc-6.4.0 25133 c7fe45cf4b819c5991fe208aaa96edf142730f1d)"
	.section	".note.GNU-stack","",@progbits
	.addrsig
	.addrsig_sym __hip_cuid_cf93b22185668518
	.amdgpu_metadata
---
amdhsa.kernels:
  - .args:
      - .actual_access:  read_only
        .address_space:  global
        .offset:         0
        .size:           8
        .value_kind:     global_buffer
      - .offset:         8
        .size:           8
        .value_kind:     by_value
      - .actual_access:  read_only
        .address_space:  global
        .offset:         16
        .size:           8
        .value_kind:     global_buffer
      - .actual_access:  read_only
        .address_space:  global
        .offset:         24
        .size:           8
        .value_kind:     global_buffer
      - .actual_access:  read_only
        .address_space:  global
        .offset:         32
        .size:           8
        .value_kind:     global_buffer
      - .offset:         40
        .size:           8
        .value_kind:     by_value
      - .actual_access:  read_only
        .address_space:  global
        .offset:         48
        .size:           8
        .value_kind:     global_buffer
      - .actual_access:  read_only
        .address_space:  global
        .offset:         56
        .size:           8
        .value_kind:     global_buffer
      - .offset:         64
        .size:           4
        .value_kind:     by_value
      - .actual_access:  read_only
        .address_space:  global
        .offset:         72
        .size:           8
        .value_kind:     global_buffer
      - .actual_access:  read_only
        .address_space:  global
        .offset:         80
        .size:           8
        .value_kind:     global_buffer
      - .actual_access:  read_only
        .address_space:  global
        .offset:         88
        .size:           8
        .value_kind:     global_buffer
      - .actual_access:  write_only
        .address_space:  global
        .offset:         96
        .size:           8
        .value_kind:     global_buffer
    .group_segment_fixed_size: 0
    .kernarg_segment_align: 8
    .kernarg_segment_size: 104
    .language:       OpenCL C
    .language_version:
      - 2
      - 0
    .max_flat_workgroup_size: 156
    .name:           fft_rtc_fwd_len169_factors_13_13_wgs_156_tpt_13_dp_op_CI_CI_sbrc_unaligned
    .private_segment_fixed_size: 0
    .sgpr_count:     54
    .sgpr_spill_count: 0
    .symbol:         fft_rtc_fwd_len169_factors_13_13_wgs_156_tpt_13_dp_op_CI_CI_sbrc_unaligned.kd
    .uniform_work_group_size: 1
    .uses_dynamic_stack: false
    .vgpr_count:     252
    .vgpr_spill_count: 0
    .wavefront_size: 32
    .workgroup_processor_mode: 1
amdhsa.target:   amdgcn-amd-amdhsa--gfx1030
amdhsa.version:
  - 1
  - 2
...

	.end_amdgpu_metadata
